;; amdgpu-corpus repo=zjin-lcf/HeCBench kind=compiled arch=gfx1250 opt=O3
	.amdgcn_target "amdgcn-amd-amdhsa--gfx1250"
	.amdhsa_code_object_version 6
	.text
	.protected	_Z2gaPKcS0_Pcjiiii      ; -- Begin function _Z2gaPKcS0_Pcjiiii
	.globl	_Z2gaPKcS0_Pcjiiii
	.p2align	8
	.type	_Z2gaPKcS0_Pcjiiii,@function
_Z2gaPKcS0_Pcjiiii:                     ; @_Z2gaPKcS0_Pcjiiii
; %bb.0:
	s_clause 0x1
	s_load_b32 s2, s[0:1], 0x3c
	s_load_b128 s[4:7], s[0:1], 0x18
	s_bfe_u32 s3, ttmp6, 0x4000c
	s_and_b32 s8, ttmp6, 15
	s_add_co_i32 s3, s3, 1
	s_getreg_b32 s9, hwreg(HW_REG_IB_STS2, 6, 4)
	s_mul_i32 s3, ttmp9, s3
	s_delay_alu instid0(SALU_CYCLE_1)
	s_add_co_i32 s8, s8, s3
	s_wait_kmcnt 0x0
	s_and_b32 s2, s2, 0xffff
	s_cmp_eq_u32 s9, 0
	s_cselect_b32 s3, ttmp9, s8
	s_cmp_ge_i32 s5, s6
	v_mad_u32 v1, s3, s2, v0
	s_cselect_b32 s2, -1, 0
	s_delay_alu instid0(VALU_DEP_1) | instskip(SKIP_2) | instid1(SALU_CYCLE_1)
	v_cmp_ge_u32_e32 vcc_lo, s4, v1
	s_mov_b32 s4, 0
	s_and_b32 s2, vcc_lo, s2
	s_and_saveexec_b32 s3, s2
	s_cbranch_execz .LBB0_17
; %bb.1:
	s_clause 0x2
	s_load_b32 s13, s[0:1], 0x28
	s_load_b128 s[8:11], s[0:1], 0x0
	s_load_b64 s[2:3], s[0:1], 0x10
	s_cmp_gt_i32 s6, 0
	s_mov_b32 s17, 0
	s_cselect_b32 s12, -1, 0
	s_sub_co_i32 s5, s5, s6
                                        ; implicit-def: $sgpr16
                                        ; implicit-def: $sgpr18
	v_mov_b32_e32 v3, 0
	s_add_co_i32 s5, s5, 1
	s_cmp_lg_u32 s6, 1
	s_wait_xcnt 0x0
	s_cselect_b32 s0, -1, 0
	s_sub_co_i32 s1, 0, s6
	s_wait_kmcnt 0x0
	v_add_nc_u32_e32 v0, s13, v1
	s_and_b32 s13, s6, 0x7ffffffe
	s_delay_alu instid0(VALU_DEP_1)
	v_cmp_ge_u32_e32 vcc_lo, s1, v0
	s_and_b32 s14, s0, vcc_lo
	s_cmp_lg_u32 s6, s13
	s_cselect_b32 s15, -1, 0
	s_branch .LBB0_3
.LBB0_2:                                ;   in Loop: Header=BB0_3 Depth=1
	s_or_b32 exec_lo, exec_lo, s1
	s_delay_alu instid0(SALU_CYCLE_1) | instskip(NEXT) | instid1(SALU_CYCLE_1)
	s_and_b32 s0, exec_lo, s0
	s_or_b32 s4, s0, s4
	s_and_not1_b32 s0, s16, exec_lo
	s_and_b32 s1, s18, exec_lo
	s_delay_alu instid0(SALU_CYCLE_1)
	s_or_b32 s16, s0, s1
	s_and_not1_b32 exec_lo, exec_lo, s4
	s_cbranch_execz .LBB0_15
.LBB0_3:                                ; =>This Loop Header: Depth=1
                                        ;     Child Loop BB0_6 Depth 2
                                        ;     Child Loop BB0_10 Depth 2
	v_mov_b32_e32 v6, 0
	s_and_not1_b32 vcc_lo, exec_lo, s12
	s_cbranch_vccnz .LBB0_13
; %bb.4:                                ;   in Loop: Header=BB0_3 Depth=1
	v_dual_mov_b32 v6, 0 :: v_dual_mov_b32 v2, 0
	s_mov_b32 s0, -1
	s_and_saveexec_b32 s19, s14
	s_cbranch_execz .LBB0_8
; %bb.5:                                ;   in Loop: Header=BB0_3 Depth=1
	v_dual_mov_b32 v2, 0 :: v_dual_mov_b32 v4, v0
	v_mov_b32_e32 v5, 0
	s_mov_b64 s[0:1], s[10:11]
	s_mov_b32 s20, s13
.LBB0_6:                                ;   Parent Loop BB0_3 Depth=1
                                        ; =>  This Inner Loop Header: Depth=2
	global_load_u16 v6, v3, s[0:1]
	global_load_u16 v7, v4, s[8:9]
	s_wait_xcnt 0x0
	v_add_nc_u32_e32 v4, 2, v4
	s_add_co_i32 s20, s20, -2
	s_add_nc_u64 s[0:1], s[0:1], 2
	s_cmp_lg_u32 s20, 0
	s_wait_loadcnt 0x1
	v_and_b32_e32 v8, 0xffff, v6
	s_wait_loadcnt 0x0
	v_and_b32_e32 v9, 0xff, v7
	v_and_b32_e32 v6, 0xff, v6
	v_lshrrev_b16 v7, 8, v7
	v_lshrrev_b32_e32 v8, 8, v8
	s_delay_alu instid0(VALU_DEP_3) | instskip(SKIP_1) | instid1(VALU_DEP_3)
	v_cmp_ne_u16_e32 vcc_lo, v9, v6
	v_add_co_ci_u32_e64 v2, null, 0, v2, vcc_lo
	v_cmp_ne_u16_e32 vcc_lo, v7, v8
	v_add_co_ci_u32_e64 v5, null, 0, v5, vcc_lo
	s_cbranch_scc1 .LBB0_6
; %bb.7:                                ;   in Loop: Header=BB0_3 Depth=1
	v_dual_add_nc_u32 v6, v2, v5 :: v_dual_mov_b32 v2, s13
	s_or_not1_b32 s0, s15, exec_lo
.LBB0_8:                                ;   in Loop: Header=BB0_3 Depth=1
	s_or_b32 exec_lo, exec_lo, s19
	s_and_saveexec_b32 s1, s0
	s_cbranch_execz .LBB0_12
; %bb.9:                                ;   in Loop: Header=BB0_3 Depth=1
	v_mov_b64_e32 v[4:5], v[2:3]
	s_mov_b32 s19, 0
.LBB0_10:                               ;   Parent Loop BB0_3 Depth=1
                                        ; =>  This Inner Loop Header: Depth=2
	s_delay_alu instid0(VALU_DEP_1)
	v_add_nc_u64_e32 v[8:9], s[10:11], v[4:5]
	v_add_nc_u32_e32 v2, v0, v4
	v_add_nc_u64_e32 v[4:5], 1, v[4:5]
	global_load_u8 v7, v2, s[8:9]
	global_load_u8 v10, v[8:9], off
	v_cmp_eq_u32_e32 vcc_lo, s6, v4
	s_or_b32 s19, vcc_lo, s19
	s_wait_loadcnt 0x0
	v_cmp_ne_u16_e64 s0, v7, v10
	s_delay_alu instid0(VALU_DEP_1)
	v_add_co_ci_u32_e64 v6, null, 0, v6, s0
	s_and_not1_b32 exec_lo, exec_lo, s19
	s_cbranch_execnz .LBB0_10
; %bb.11:                               ;   in Loop: Header=BB0_3 Depth=1
	s_or_b32 exec_lo, exec_lo, s19
.LBB0_12:                               ;   in Loop: Header=BB0_3 Depth=1
	s_delay_alu instid0(SALU_CYCLE_1)
	s_or_b32 exec_lo, exec_lo, s1
.LBB0_13:                               ;   in Loop: Header=BB0_3 Depth=1
	s_mov_b32 s0, -1
	s_or_b32 s18, s18, exec_lo
	s_mov_b32 s1, exec_lo
	v_cmpx_le_i32_e64 s7, v6
	s_cbranch_execz .LBB0_2
; %bb.14:                               ;   in Loop: Header=BB0_3 Depth=1
	s_add_co_i32 s17, s17, 1
	s_add_nc_u64 s[10:11], s[10:11], 1
	s_cmp_eq_u32 s17, s5
	s_cselect_b32 s0, -1, 0
	s_and_not1_b32 s18, s18, exec_lo
	s_or_not1_b32 s0, s0, exec_lo
	s_branch .LBB0_2
.LBB0_15:
	s_or_b32 exec_lo, exec_lo, s4
	s_and_saveexec_b32 s0, s16
	s_delay_alu instid0(SALU_CYCLE_1)
	s_xor_b32 s0, exec_lo, s0
	s_cbranch_execz .LBB0_17
; %bb.16:
	v_mov_b32_e32 v0, 1
	global_store_b8 v1, v0, s[2:3]
.LBB0_17:
	s_endpgm
	.section	.rodata,"a",@progbits
	.p2align	6, 0x0
	.amdhsa_kernel _Z2gaPKcS0_Pcjiiii
		.amdhsa_group_segment_fixed_size 0
		.amdhsa_private_segment_fixed_size 0
		.amdhsa_kernarg_size 304
		.amdhsa_user_sgpr_count 2
		.amdhsa_user_sgpr_dispatch_ptr 0
		.amdhsa_user_sgpr_queue_ptr 0
		.amdhsa_user_sgpr_kernarg_segment_ptr 1
		.amdhsa_user_sgpr_dispatch_id 0
		.amdhsa_user_sgpr_kernarg_preload_length 0
		.amdhsa_user_sgpr_kernarg_preload_offset 0
		.amdhsa_user_sgpr_private_segment_size 0
		.amdhsa_wavefront_size32 1
		.amdhsa_uses_dynamic_stack 0
		.amdhsa_enable_private_segment 0
		.amdhsa_system_sgpr_workgroup_id_x 1
		.amdhsa_system_sgpr_workgroup_id_y 0
		.amdhsa_system_sgpr_workgroup_id_z 0
		.amdhsa_system_sgpr_workgroup_info 0
		.amdhsa_system_vgpr_workitem_id 0
		.amdhsa_next_free_vgpr 11
		.amdhsa_next_free_sgpr 21
		.amdhsa_named_barrier_count 0
		.amdhsa_reserve_vcc 1
		.amdhsa_float_round_mode_32 0
		.amdhsa_float_round_mode_16_64 0
		.amdhsa_float_denorm_mode_32 3
		.amdhsa_float_denorm_mode_16_64 3
		.amdhsa_fp16_overflow 0
		.amdhsa_memory_ordered 1
		.amdhsa_forward_progress 1
		.amdhsa_inst_pref_size 6
		.amdhsa_round_robin_scheduling 0
		.amdhsa_exception_fp_ieee_invalid_op 0
		.amdhsa_exception_fp_denorm_src 0
		.amdhsa_exception_fp_ieee_div_zero 0
		.amdhsa_exception_fp_ieee_overflow 0
		.amdhsa_exception_fp_ieee_underflow 0
		.amdhsa_exception_fp_ieee_inexact 0
		.amdhsa_exception_int_div_zero 0
	.end_amdhsa_kernel
	.text
.Lfunc_end0:
	.size	_Z2gaPKcS0_Pcjiiii, .Lfunc_end0-_Z2gaPKcS0_Pcjiiii
                                        ; -- End function
	.set _Z2gaPKcS0_Pcjiiii.num_vgpr, 11
	.set _Z2gaPKcS0_Pcjiiii.num_agpr, 0
	.set _Z2gaPKcS0_Pcjiiii.numbered_sgpr, 21
	.set _Z2gaPKcS0_Pcjiiii.num_named_barrier, 0
	.set _Z2gaPKcS0_Pcjiiii.private_seg_size, 0
	.set _Z2gaPKcS0_Pcjiiii.uses_vcc, 1
	.set _Z2gaPKcS0_Pcjiiii.uses_flat_scratch, 0
	.set _Z2gaPKcS0_Pcjiiii.has_dyn_sized_stack, 0
	.set _Z2gaPKcS0_Pcjiiii.has_recursion, 0
	.set _Z2gaPKcS0_Pcjiiii.has_indirect_call, 0
	.section	.AMDGPU.csdata,"",@progbits
; Kernel info:
; codeLenInByte = 660
; TotalNumSgprs: 23
; NumVgprs: 11
; ScratchSize: 0
; MemoryBound: 0
; FloatMode: 240
; IeeeMode: 1
; LDSByteSize: 0 bytes/workgroup (compile time only)
; SGPRBlocks: 0
; VGPRBlocks: 0
; NumSGPRsForWavesPerEU: 23
; NumVGPRsForWavesPerEU: 11
; NamedBarCnt: 0
; Occupancy: 16
; WaveLimiterHint : 0
; COMPUTE_PGM_RSRC2:SCRATCH_EN: 0
; COMPUTE_PGM_RSRC2:USER_SGPR: 2
; COMPUTE_PGM_RSRC2:TRAP_HANDLER: 0
; COMPUTE_PGM_RSRC2:TGID_X_EN: 1
; COMPUTE_PGM_RSRC2:TGID_Y_EN: 0
; COMPUTE_PGM_RSRC2:TGID_Z_EN: 0
; COMPUTE_PGM_RSRC2:TIDIG_COMP_CNT: 0
	.text
	.p2alignl 7, 3214868480
	.fill 96, 4, 3214868480
	.section	.AMDGPU.gpr_maximums,"",@progbits
	.set amdgpu.max_num_vgpr, 0
	.set amdgpu.max_num_agpr, 0
	.set amdgpu.max_num_sgpr, 0
	.text
	.type	__hip_cuid_efbad631fd939dd,@object ; @__hip_cuid_efbad631fd939dd
	.section	.bss,"aw",@nobits
	.globl	__hip_cuid_efbad631fd939dd
__hip_cuid_efbad631fd939dd:
	.byte	0                               ; 0x0
	.size	__hip_cuid_efbad631fd939dd, 1

	.ident	"AMD clang version 22.0.0git (https://github.com/RadeonOpenCompute/llvm-project roc-7.2.4 26084 f58b06dce1f9c15707c5f808fd002e18c2accf7e)"
	.section	".note.GNU-stack","",@progbits
	.addrsig
	.addrsig_sym __hip_cuid_efbad631fd939dd
	.amdgpu_metadata
---
amdhsa.kernels:
  - .args:
      - .actual_access:  read_only
        .address_space:  global
        .offset:         0
        .size:           8
        .value_kind:     global_buffer
      - .actual_access:  read_only
        .address_space:  global
        .offset:         8
        .size:           8
        .value_kind:     global_buffer
      - .actual_access:  write_only
        .address_space:  global
        .offset:         16
        .size:           8
        .value_kind:     global_buffer
      - .offset:         24
        .size:           4
        .value_kind:     by_value
      - .offset:         28
        .size:           4
        .value_kind:     by_value
      - .offset:         32
        .size:           4
        .value_kind:     by_value
      - .offset:         36
        .size:           4
        .value_kind:     by_value
      - .offset:         40
        .size:           4
        .value_kind:     by_value
      - .offset:         48
        .size:           4
        .value_kind:     hidden_block_count_x
      - .offset:         52
        .size:           4
        .value_kind:     hidden_block_count_y
      - .offset:         56
        .size:           4
        .value_kind:     hidden_block_count_z
      - .offset:         60
        .size:           2
        .value_kind:     hidden_group_size_x
      - .offset:         62
        .size:           2
        .value_kind:     hidden_group_size_y
      - .offset:         64
        .size:           2
        .value_kind:     hidden_group_size_z
      - .offset:         66
        .size:           2
        .value_kind:     hidden_remainder_x
      - .offset:         68
        .size:           2
        .value_kind:     hidden_remainder_y
      - .offset:         70
        .size:           2
        .value_kind:     hidden_remainder_z
      - .offset:         88
        .size:           8
        .value_kind:     hidden_global_offset_x
      - .offset:         96
        .size:           8
        .value_kind:     hidden_global_offset_y
      - .offset:         104
        .size:           8
        .value_kind:     hidden_global_offset_z
      - .offset:         112
        .size:           2
        .value_kind:     hidden_grid_dims
    .group_segment_fixed_size: 0
    .kernarg_segment_align: 8
    .kernarg_segment_size: 304
    .language:       OpenCL C
    .language_version:
      - 2
      - 0
    .max_flat_workgroup_size: 1024
    .name:           _Z2gaPKcS0_Pcjiiii
    .private_segment_fixed_size: 0
    .sgpr_count:     23
    .sgpr_spill_count: 0
    .symbol:         _Z2gaPKcS0_Pcjiiii.kd
    .uniform_work_group_size: 1
    .uses_dynamic_stack: false
    .vgpr_count:     11
    .vgpr_spill_count: 0
    .wavefront_size: 32
amdhsa.target:   amdgcn-amd-amdhsa--gfx1250
amdhsa.version:
  - 1
  - 2
...

	.end_amdgpu_metadata
